;; amdgpu-corpus repo=ROCm/rocFFT kind=compiled arch=gfx906 opt=O3
	.text
	.amdgcn_target "amdgcn-amd-amdhsa--gfx906"
	.amdhsa_code_object_version 6
	.protected	fft_rtc_fwd_len1638_factors_13_2_3_7_3_wgs_182_tpt_182_halfLds_sp_ip_CI_sbrr_dirReg ; -- Begin function fft_rtc_fwd_len1638_factors_13_2_3_7_3_wgs_182_tpt_182_halfLds_sp_ip_CI_sbrr_dirReg
	.globl	fft_rtc_fwd_len1638_factors_13_2_3_7_3_wgs_182_tpt_182_halfLds_sp_ip_CI_sbrr_dirReg
	.p2align	8
	.type	fft_rtc_fwd_len1638_factors_13_2_3_7_3_wgs_182_tpt_182_halfLds_sp_ip_CI_sbrr_dirReg,@function
fft_rtc_fwd_len1638_factors_13_2_3_7_3_wgs_182_tpt_182_halfLds_sp_ip_CI_sbrr_dirReg: ; @fft_rtc_fwd_len1638_factors_13_2_3_7_3_wgs_182_tpt_182_halfLds_sp_ip_CI_sbrr_dirReg
; %bb.0:
	s_load_dwordx2 s[2:3], s[4:5], 0x18
	s_load_dwordx4 s[8:11], s[4:5], 0x0
	s_load_dwordx2 s[14:15], s[4:5], 0x50
	v_mul_u32_u24_e32 v1, 0x169, v0
	v_add_u32_sdwa v5, s6, v1 dst_sel:DWORD dst_unused:UNUSED_PAD src0_sel:DWORD src1_sel:WORD_1
	s_waitcnt lgkmcnt(0)
	s_load_dwordx2 s[12:13], s[2:3], 0x0
	v_cmp_lt_u64_e64 s[0:1], s[10:11], 2
	v_mov_b32_e32 v3, 0
	v_mov_b32_e32 v1, 0
	;; [unrolled: 1-line block ×3, first 2 shown]
	s_and_b64 vcc, exec, s[0:1]
	v_mov_b32_e32 v2, 0
	s_cbranch_vccnz .LBB0_8
; %bb.1:
	s_load_dwordx2 s[0:1], s[4:5], 0x10
	s_add_u32 s6, s2, 8
	s_addc_u32 s7, s3, 0
	v_mov_b32_e32 v1, 0
	v_mov_b32_e32 v2, 0
	s_waitcnt lgkmcnt(0)
	s_add_u32 s16, s0, 8
	s_addc_u32 s17, s1, 0
	s_mov_b64 s[18:19], 1
.LBB0_2:                                ; =>This Inner Loop Header: Depth=1
	s_load_dwordx2 s[20:21], s[16:17], 0x0
                                        ; implicit-def: $vgpr7_vgpr8
	s_waitcnt lgkmcnt(0)
	v_or_b32_e32 v4, s21, v6
	v_cmp_ne_u64_e32 vcc, 0, v[3:4]
	s_and_saveexec_b64 s[0:1], vcc
	s_xor_b64 s[22:23], exec, s[0:1]
	s_cbranch_execz .LBB0_4
; %bb.3:                                ;   in Loop: Header=BB0_2 Depth=1
	v_cvt_f32_u32_e32 v4, s20
	v_cvt_f32_u32_e32 v7, s21
	s_sub_u32 s0, 0, s20
	s_subb_u32 s1, 0, s21
	v_mac_f32_e32 v4, 0x4f800000, v7
	v_rcp_f32_e32 v4, v4
	v_mul_f32_e32 v4, 0x5f7ffffc, v4
	v_mul_f32_e32 v7, 0x2f800000, v4
	v_trunc_f32_e32 v7, v7
	v_mac_f32_e32 v4, 0xcf800000, v7
	v_cvt_u32_f32_e32 v7, v7
	v_cvt_u32_f32_e32 v4, v4
	v_mul_lo_u32 v8, s0, v7
	v_mul_hi_u32 v9, s0, v4
	v_mul_lo_u32 v11, s1, v4
	v_mul_lo_u32 v10, s0, v4
	v_add_u32_e32 v8, v9, v8
	v_add_u32_e32 v8, v8, v11
	v_mul_hi_u32 v9, v4, v10
	v_mul_lo_u32 v11, v4, v8
	v_mul_hi_u32 v13, v4, v8
	v_mul_hi_u32 v12, v7, v10
	v_mul_lo_u32 v10, v7, v10
	v_mul_hi_u32 v14, v7, v8
	v_add_co_u32_e32 v9, vcc, v9, v11
	v_addc_co_u32_e32 v11, vcc, 0, v13, vcc
	v_mul_lo_u32 v8, v7, v8
	v_add_co_u32_e32 v9, vcc, v9, v10
	v_addc_co_u32_e32 v9, vcc, v11, v12, vcc
	v_addc_co_u32_e32 v10, vcc, 0, v14, vcc
	v_add_co_u32_e32 v8, vcc, v9, v8
	v_addc_co_u32_e32 v9, vcc, 0, v10, vcc
	v_add_co_u32_e32 v4, vcc, v4, v8
	v_addc_co_u32_e32 v7, vcc, v7, v9, vcc
	v_mul_lo_u32 v8, s0, v7
	v_mul_hi_u32 v9, s0, v4
	v_mul_lo_u32 v10, s1, v4
	v_mul_lo_u32 v11, s0, v4
	v_add_u32_e32 v8, v9, v8
	v_add_u32_e32 v8, v8, v10
	v_mul_lo_u32 v12, v4, v8
	v_mul_hi_u32 v13, v4, v11
	v_mul_hi_u32 v14, v4, v8
	;; [unrolled: 1-line block ×3, first 2 shown]
	v_mul_lo_u32 v11, v7, v11
	v_mul_hi_u32 v9, v7, v8
	v_add_co_u32_e32 v12, vcc, v13, v12
	v_addc_co_u32_e32 v13, vcc, 0, v14, vcc
	v_mul_lo_u32 v8, v7, v8
	v_add_co_u32_e32 v11, vcc, v12, v11
	v_addc_co_u32_e32 v10, vcc, v13, v10, vcc
	v_addc_co_u32_e32 v9, vcc, 0, v9, vcc
	v_add_co_u32_e32 v8, vcc, v10, v8
	v_addc_co_u32_e32 v9, vcc, 0, v9, vcc
	v_add_co_u32_e32 v4, vcc, v4, v8
	v_addc_co_u32_e32 v9, vcc, v7, v9, vcc
	v_mad_u64_u32 v[7:8], s[0:1], v5, v9, 0
	v_mul_hi_u32 v10, v5, v4
	v_add_co_u32_e32 v11, vcc, v10, v7
	v_addc_co_u32_e32 v12, vcc, 0, v8, vcc
	v_mad_u64_u32 v[7:8], s[0:1], v6, v4, 0
	v_mad_u64_u32 v[9:10], s[0:1], v6, v9, 0
	v_add_co_u32_e32 v4, vcc, v11, v7
	v_addc_co_u32_e32 v4, vcc, v12, v8, vcc
	v_addc_co_u32_e32 v7, vcc, 0, v10, vcc
	v_add_co_u32_e32 v4, vcc, v4, v9
	v_addc_co_u32_e32 v9, vcc, 0, v7, vcc
	v_mul_lo_u32 v10, s21, v4
	v_mul_lo_u32 v11, s20, v9
	v_mad_u64_u32 v[7:8], s[0:1], s20, v4, 0
	v_add3_u32 v8, v8, v11, v10
	v_sub_u32_e32 v10, v6, v8
	v_mov_b32_e32 v11, s21
	v_sub_co_u32_e32 v7, vcc, v5, v7
	v_subb_co_u32_e64 v10, s[0:1], v10, v11, vcc
	v_subrev_co_u32_e64 v11, s[0:1], s20, v7
	v_subbrev_co_u32_e64 v10, s[0:1], 0, v10, s[0:1]
	v_cmp_le_u32_e64 s[0:1], s21, v10
	v_cndmask_b32_e64 v12, 0, -1, s[0:1]
	v_cmp_le_u32_e64 s[0:1], s20, v11
	v_cndmask_b32_e64 v11, 0, -1, s[0:1]
	v_cmp_eq_u32_e64 s[0:1], s21, v10
	v_cndmask_b32_e64 v10, v12, v11, s[0:1]
	v_add_co_u32_e64 v11, s[0:1], 2, v4
	v_addc_co_u32_e64 v12, s[0:1], 0, v9, s[0:1]
	v_add_co_u32_e64 v13, s[0:1], 1, v4
	v_addc_co_u32_e64 v14, s[0:1], 0, v9, s[0:1]
	v_subb_co_u32_e32 v8, vcc, v6, v8, vcc
	v_cmp_ne_u32_e64 s[0:1], 0, v10
	v_cmp_le_u32_e32 vcc, s21, v8
	v_cndmask_b32_e64 v10, v14, v12, s[0:1]
	v_cndmask_b32_e64 v12, 0, -1, vcc
	v_cmp_le_u32_e32 vcc, s20, v7
	v_cndmask_b32_e64 v7, 0, -1, vcc
	v_cmp_eq_u32_e32 vcc, s21, v8
	v_cndmask_b32_e32 v7, v12, v7, vcc
	v_cmp_ne_u32_e32 vcc, 0, v7
	v_cndmask_b32_e64 v7, v13, v11, s[0:1]
	v_cndmask_b32_e32 v8, v9, v10, vcc
	v_cndmask_b32_e32 v7, v4, v7, vcc
.LBB0_4:                                ;   in Loop: Header=BB0_2 Depth=1
	s_andn2_saveexec_b64 s[0:1], s[22:23]
	s_cbranch_execz .LBB0_6
; %bb.5:                                ;   in Loop: Header=BB0_2 Depth=1
	v_cvt_f32_u32_e32 v4, s20
	s_sub_i32 s22, 0, s20
	v_rcp_iflag_f32_e32 v4, v4
	v_mul_f32_e32 v4, 0x4f7ffffe, v4
	v_cvt_u32_f32_e32 v4, v4
	v_mul_lo_u32 v7, s22, v4
	v_mul_hi_u32 v7, v4, v7
	v_add_u32_e32 v4, v4, v7
	v_mul_hi_u32 v4, v5, v4
	v_mul_lo_u32 v7, v4, s20
	v_add_u32_e32 v8, 1, v4
	v_sub_u32_e32 v7, v5, v7
	v_subrev_u32_e32 v9, s20, v7
	v_cmp_le_u32_e32 vcc, s20, v7
	v_cndmask_b32_e32 v7, v7, v9, vcc
	v_cndmask_b32_e32 v4, v4, v8, vcc
	v_add_u32_e32 v8, 1, v4
	v_cmp_le_u32_e32 vcc, s20, v7
	v_cndmask_b32_e32 v7, v4, v8, vcc
	v_mov_b32_e32 v8, v3
.LBB0_6:                                ;   in Loop: Header=BB0_2 Depth=1
	s_or_b64 exec, exec, s[0:1]
	v_mul_lo_u32 v4, v8, s20
	v_mul_lo_u32 v11, v7, s21
	v_mad_u64_u32 v[9:10], s[0:1], v7, s20, 0
	s_load_dwordx2 s[0:1], s[6:7], 0x0
	s_add_u32 s18, s18, 1
	v_add3_u32 v4, v10, v11, v4
	v_sub_co_u32_e32 v5, vcc, v5, v9
	v_subb_co_u32_e32 v4, vcc, v6, v4, vcc
	s_waitcnt lgkmcnt(0)
	v_mul_lo_u32 v4, s0, v4
	v_mul_lo_u32 v6, s1, v5
	v_mad_u64_u32 v[1:2], s[0:1], s0, v5, v[1:2]
	s_addc_u32 s19, s19, 0
	s_add_u32 s6, s6, 8
	v_add3_u32 v2, v6, v2, v4
	v_mov_b32_e32 v4, s10
	v_mov_b32_e32 v5, s11
	s_addc_u32 s7, s7, 0
	v_cmp_ge_u64_e32 vcc, s[18:19], v[4:5]
	s_add_u32 s16, s16, 8
	s_addc_u32 s17, s17, 0
	s_cbranch_vccnz .LBB0_9
; %bb.7:                                ;   in Loop: Header=BB0_2 Depth=1
	v_mov_b32_e32 v5, v7
	v_mov_b32_e32 v6, v8
	s_branch .LBB0_2
.LBB0_8:
	v_mov_b32_e32 v8, v6
	v_mov_b32_e32 v7, v5
.LBB0_9:
	s_lshl_b64 s[0:1], s[10:11], 3
	s_add_u32 s0, s2, s0
	s_addc_u32 s1, s3, s1
	s_load_dwordx2 s[2:3], s[0:1], 0x0
	s_load_dwordx2 s[6:7], s[4:5], 0x20
	v_mov_b32_e32 v10, 0
	v_mov_b32_e32 v9, 0
                                        ; implicit-def: $vgpr12
                                        ; implicit-def: $vgpr14
                                        ; implicit-def: $vgpr16
                                        ; implicit-def: $vgpr18
                                        ; implicit-def: $vgpr20
                                        ; implicit-def: $vgpr22
                                        ; implicit-def: $vgpr24
                                        ; implicit-def: $vgpr26
                                        ; implicit-def: $vgpr28
                                        ; implicit-def: $vgpr30
                                        ; implicit-def: $vgpr34
                                        ; implicit-def: $vgpr32
	s_waitcnt lgkmcnt(0)
	v_mad_u64_u32 v[1:2], s[0:1], s2, v7, v[1:2]
	s_mov_b32 s0, 0x1681682
	v_mul_lo_u32 v3, s2, v8
	v_mul_lo_u32 v4, s3, v7
	v_mul_hi_u32 v5, v0, s0
	v_cmp_gt_u64_e32 vcc, s[6:7], v[7:8]
	s_movk_i32 s0, 0x7e
	v_add3_u32 v2, v4, v2, v3
	v_mul_u32_u24_e32 v3, 0xb6, v5
	v_sub_u32_e32 v43, v0, v3
	v_cmp_gt_u32_e64 s[0:1], s0, v43
	v_lshlrev_b64 v[0:1], 3, v[1:2]
	s_and_b64 s[2:3], vcc, s[0:1]
	s_and_saveexec_b64 s[4:5], s[2:3]
	s_cbranch_execz .LBB0_11
; %bb.10:
	v_mad_u64_u32 v[2:3], s[2:3], s12, v43, 0
	v_add_u32_e32 v7, 0x7e, v43
	v_mov_b32_e32 v6, s15
	v_mad_u64_u32 v[3:4], s[2:3], s13, v43, v[3:4]
	v_mad_u64_u32 v[4:5], s[2:3], s12, v7, 0
	v_add_co_u32_e64 v16, s[2:3], s14, v0
	v_addc_co_u32_e64 v17, s[2:3], v6, v1, s[2:3]
	v_mad_u64_u32 v[5:6], s[2:3], s13, v7, v[5:6]
	v_add_u32_e32 v8, 0xfc, v43
	v_mad_u64_u32 v[6:7], s[2:3], s12, v8, 0
	v_lshlrev_b64 v[2:3], 3, v[2:3]
	v_add_u32_e32 v10, 0x17a, v43
	v_add_co_u32_e64 v2, s[2:3], v16, v2
	v_addc_co_u32_e64 v3, s[2:3], v17, v3, s[2:3]
	v_mad_u64_u32 v[7:8], s[2:3], s13, v8, v[7:8]
	v_mad_u64_u32 v[8:9], s[2:3], s12, v10, 0
	v_lshlrev_b64 v[4:5], 3, v[4:5]
	v_add_u32_e32 v12, 0x1f8, v43
	v_add_co_u32_e64 v4, s[2:3], v16, v4
	v_addc_co_u32_e64 v5, s[2:3], v17, v5, s[2:3]
	v_mad_u64_u32 v[9:10], s[2:3], s13, v10, v[9:10]
	;; [unrolled: 6-line block ×3, first 2 shown]
	v_mad_u64_u32 v[12:13], s[2:3], s12, v14, 0
	v_lshlrev_b64 v[8:9], 3, v[8:9]
	v_add_co_u32_e64 v35, s[2:3], v16, v8
	v_addc_co_u32_e64 v36, s[2:3], v17, v9, s[2:3]
	v_lshlrev_b64 v[8:9], 3, v[10:11]
	v_mov_b32_e32 v10, v13
	v_mad_u64_u32 v[10:11], s[2:3], s13, v14, v[10:11]
	v_add_u32_e32 v11, 0x2f4, v43
	v_mad_u64_u32 v[14:15], s[2:3], s12, v11, 0
	v_add_co_u32_e64 v37, s[2:3], v16, v8
	v_mov_b32_e32 v13, v10
	v_mov_b32_e32 v10, v15
	v_addc_co_u32_e64 v38, s[2:3], v17, v9, s[2:3]
	v_lshlrev_b64 v[8:9], 3, v[12:13]
	v_mad_u64_u32 v[10:11], s[2:3], s13, v11, v[10:11]
	v_add_u32_e32 v13, 0x372, v43
	v_mad_u64_u32 v[11:12], s[2:3], s12, v13, 0
	v_add_co_u32_e64 v39, s[2:3], v16, v8
	v_mov_b32_e32 v15, v10
	v_mov_b32_e32 v10, v12
	v_addc_co_u32_e64 v40, s[2:3], v17, v9, s[2:3]
	v_lshlrev_b64 v[8:9], 3, v[14:15]
	v_mad_u64_u32 v[12:13], s[2:3], s13, v13, v[10:11]
	v_add_u32_e32 v15, 0x3f0, v43
	v_mad_u64_u32 v[13:14], s[2:3], s12, v15, 0
	v_add_co_u32_e64 v41, s[2:3], v16, v8
	v_mov_b32_e32 v10, v14
	v_addc_co_u32_e64 v42, s[2:3], v17, v9, s[2:3]
	v_lshlrev_b64 v[8:9], 3, v[11:12]
	v_mad_u64_u32 v[10:11], s[2:3], s13, v15, v[10:11]
	v_add_u32_e32 v15, 0x46e, v43
	v_mad_u64_u32 v[11:12], s[2:3], s12, v15, 0
	v_add_co_u32_e64 v44, s[2:3], v16, v8
	v_mov_b32_e32 v14, v10
	v_mov_b32_e32 v10, v12
	v_addc_co_u32_e64 v45, s[2:3], v17, v9, s[2:3]
	v_lshlrev_b64 v[8:9], 3, v[13:14]
	v_mad_u64_u32 v[12:13], s[2:3], s13, v15, v[10:11]
	v_add_u32_e32 v15, 0x4ec, v43
	v_mad_u64_u32 v[13:14], s[2:3], s12, v15, 0
	v_add_co_u32_e64 v46, s[2:3], v16, v8
	;; [unrolled: 15-line block ×3, first 2 shown]
	v_mov_b32_e32 v10, v14
	v_addc_co_u32_e64 v51, s[2:3], v17, v9, s[2:3]
	v_lshlrev_b64 v[8:9], 3, v[11:12]
	v_mad_u64_u32 v[10:11], s[2:3], s13, v15, v[10:11]
	v_add_co_u32_e64 v52, s[2:3], v16, v8
	v_mov_b32_e32 v14, v10
	v_addc_co_u32_e64 v53, s[2:3], v17, v9, s[2:3]
	v_lshlrev_b64 v[8:9], 3, v[13:14]
	v_add_co_u32_e64 v54, s[2:3], v16, v8
	v_addc_co_u32_e64 v55, s[2:3], v17, v9, s[2:3]
	global_load_dwordx2 v[9:10], v[2:3], off
	global_load_dwordx2 v[11:12], v[4:5], off
	;; [unrolled: 1-line block ×13, first 2 shown]
.LBB0_11:
	s_or_b64 exec, exec, s[4:5]
	s_waitcnt vmcnt(0)
	v_add_f32_e32 v49, v11, v33
	v_mul_f32_e32 v4, 0x3f62ad3f, v49
	v_add_f32_e32 v52, v13, v29
	v_sub_f32_e32 v39, v12, v34
	v_mov_b32_e32 v2, v4
	v_mul_f32_e32 v7, 0x3f116cb1, v52
	v_fmac_f32_e32 v2, 0xbeedf032, v39
	v_sub_f32_e32 v41, v14, v30
	v_mov_b32_e32 v3, v7
	v_add_f32_e32 v2, v9, v2
	v_fmac_f32_e32 v3, 0xbf52af12, v41
	v_mul_f32_e32 v8, 0x3f116cb1, v49
	v_add_f32_e32 v2, v3, v2
	v_mov_b32_e32 v3, v8
	v_mul_f32_e32 v35, 0xbeb58ec6, v52
	v_fmac_f32_e32 v3, 0xbf52af12, v39
	v_mov_b32_e32 v5, v35
	v_add_f32_e32 v56, v15, v31
	v_add_f32_e32 v3, v9, v3
	v_fmac_f32_e32 v5, 0xbf6f5d39, v41
	v_mul_f32_e32 v36, 0x3df6dbef, v56
	v_add_f32_e32 v3, v5, v3
	v_sub_f32_e32 v44, v16, v32
	v_mov_b32_e32 v5, v36
	v_fmac_f32_e32 v5, 0xbf7e222b, v44
	v_mul_f32_e32 v37, 0xbf788fa5, v56
	v_add_f32_e32 v2, v2, v5
	v_mov_b32_e32 v5, v37
	v_add_f32_e32 v59, v17, v27
	v_fmac_f32_e32 v5, 0xbe750f2a, v44
	v_mul_f32_e32 v38, 0xbeb58ec6, v59
	v_add_f32_e32 v3, v3, v5
	v_sub_f32_e32 v48, v18, v28
	v_mov_b32_e32 v5, v38
	v_fmac_f32_e32 v5, 0xbf6f5d39, v48
	v_mul_f32_e32 v40, 0xbf3f9e67, v59
	v_add_f32_e32 v2, v5, v2
	v_mov_b32_e32 v5, v40
	;; [unrolled: 10-line block ×4, first 2 shown]
	v_fmac_f32_e32 v2, 0x3eedf032, v53
	v_mul_f32_e32 v54, 0x3df6dbef, v49
	v_add_f32_e32 v2, v2, v5
	v_mov_b32_e32 v5, v54
	v_mul_f32_e32 v55, 0xbf788fa5, v52
	v_fmac_f32_e32 v5, 0xbf7e222b, v39
	v_mov_b32_e32 v6, v55
	v_add_f32_e32 v5, v9, v5
	v_fmac_f32_e32 v6, 0xbe750f2a, v41
	v_mul_f32_e32 v62, 0xbeb58ec6, v49
	v_add_f32_e32 v5, v6, v5
	v_mov_b32_e32 v6, v62
	v_mul_f32_e32 v61, 0xbf3f9e67, v52
	v_fmac_f32_e32 v6, 0xbf6f5d39, v39
	v_mov_b32_e32 v45, v61
	v_add_f32_e32 v6, v9, v6
	;; [unrolled: 8-line block ×3, first 2 shown]
	v_fmac_f32_e32 v57, 0x3f7e222b, v41
	v_add_f32_e32 v45, v57, v45
	v_mul_f32_e32 v57, 0xbeb58ec6, v56
	v_mov_b32_e32 v58, v57
	v_fmac_f32_e32 v58, 0x3f6f5d39, v44
	v_mul_f32_e32 v64, 0x3f62ad3f, v56
	v_add_f32_e32 v5, v5, v58
	v_mov_b32_e32 v58, v64
	v_fmac_f32_e32 v58, 0x3eedf032, v44
	v_mul_f32_e32 v72, 0x3f116cb1, v56
	v_add_f32_e32 v6, v6, v58
	v_mov_b32_e32 v58, v72
	v_fmac_f32_e32 v58, 0xbf52af12, v44
	v_add_f32_e32 v45, v45, v58
	v_mul_f32_e32 v58, 0x3f62ad3f, v59
	v_mov_b32_e32 v60, v58
	v_fmac_f32_e32 v60, 0x3eedf032, v48
	v_mul_f32_e32 v65, 0x3df6dbef, v59
	v_add_f32_e32 v5, v60, v5
	v_mov_b32_e32 v60, v65
	v_fmac_f32_e32 v60, 0xbf7e222b, v48
	v_mul_f32_e32 v73, 0xbf788fa5, v59
	v_add_f32_e32 v6, v60, v6
	v_mov_b32_e32 v60, v73
	v_fmac_f32_e32 v60, 0x3e750f2a, v48
	v_add_f32_e32 v45, v60, v45
	v_mul_f32_e32 v60, 0x3f116cb1, v63
	v_mov_b32_e32 v66, v60
	v_fmac_f32_e32 v66, 0xbf52af12, v51
	v_add_f32_e32 v5, v66, v5
	v_mul_f32_e32 v66, 0xbf788fa5, v63
	v_mov_b32_e32 v68, v66
	v_fmac_f32_e32 v68, 0x3e750f2a, v51
	v_mul_f32_e32 v74, 0x3f62ad3f, v63
	v_add_f32_e32 v6, v68, v6
	v_mov_b32_e32 v68, v74
	v_fmac_f32_e32 v68, 0x3eedf032, v51
	v_mul_f32_e32 v69, 0x3f116cb1, v67
	v_add_f32_e32 v45, v68, v45
	v_mov_b32_e32 v68, v69
	v_fmac_f32_e32 v68, 0x3f52af12, v53
	v_mul_f32_e32 v75, 0xbeb58ec6, v67
	v_add_f32_e32 v6, v68, v6
	v_mov_b32_e32 v68, v75
	v_fmac_f32_e32 v68, 0xbf6f5d39, v53
	v_add_f32_e32 v45, v68, v45
	v_mul_f32_e32 v68, 0xbf3f9e67, v67
	v_mov_b32_e32 v76, v68
	v_fmac_f32_e32 v76, 0xbf29c268, v53
	s_mov_b32 s7, 0x3f62ad3f
	s_mov_b32 s6, 0x3f116cb1
	;; [unrolled: 1-line block ×6, first 2 shown]
	v_add_f32_e32 v5, v76, v5
	s_and_saveexec_b64 s[2:3], s[0:1]
	s_cbranch_execz .LBB0_13
; %bb.12:
	v_mul_f32_e32 v76, 0xbe750f2a, v39
	v_mov_b32_e32 v77, v76
	v_mul_f32_e32 v78, 0x3eedf032, v41
	v_fmac_f32_e32 v77, 0xbf788fa5, v49
	v_mov_b32_e32 v79, v78
	v_add_f32_e32 v77, v9, v77
	v_fmac_f32_e32 v79, 0x3f62ad3f, v52
	v_add_f32_e32 v77, v79, v77
	v_mul_f32_e32 v79, 0xbf29c268, v44
	v_mov_b32_e32 v80, v79
	v_fmac_f32_e32 v80, 0xbf3f9e67, v56
	v_add_f32_e32 v77, v77, v80
	v_mul_f32_e32 v80, 0x3f52af12, v48
	v_mov_b32_e32 v81, v80
	v_fmac_f32_e32 v81, 0x3f116cb1, v59
	v_fma_f32 v49, v49, s11, -v76
	v_add_f32_e32 v77, v81, v77
	v_mul_f32_e32 v81, 0xbf6f5d39, v51
	v_fma_f32 v52, v52, s7, -v78
	v_add_f32_e32 v49, v9, v49
	v_mov_b32_e32 v82, v81
	v_add_f32_e32 v49, v52, v49
	v_fma_f32 v52, v56, s10, -v79
	v_fmac_f32_e32 v82, 0xbeb58ec6, v63
	v_add_f32_e32 v49, v49, v52
	v_fma_f32 v52, v59, s6, -v80
	v_add_f32_e32 v77, v82, v77
	v_mul_f32_e32 v82, 0x3f7e222b, v53
	v_add_f32_e32 v49, v52, v49
	v_fma_f32 v52, v63, s5, -v81
	v_add_f32_e32 v49, v52, v49
	v_fma_f32 v52, v67, s4, -v82
	v_add_f32_e32 v49, v52, v49
	v_mul_f32_e32 v52, 0xbf29c268, v39
	v_sub_f32_e32 v52, v70, v52
	v_mul_f32_e32 v59, 0x3f7e222b, v41
	v_sub_f32_e32 v59, v71, v59
	v_add_f32_e32 v52, v9, v52
	v_add_f32_e32 v52, v59, v52
	v_mul_f32_e32 v59, 0xbf52af12, v44
	v_sub_f32_e32 v59, v72, v59
	v_add_f32_e32 v52, v52, v59
	v_mul_f32_e32 v59, 0x3e750f2a, v48
	v_sub_f32_e32 v59, v73, v59
	v_add_f32_e32 v52, v59, v52
	v_mul_f32_e32 v59, 0x3eedf032, v51
	v_mov_b32_e32 v83, v82
	v_sub_f32_e32 v59, v74, v59
	v_fmac_f32_e32 v83, 0x3df6dbef, v67
	v_mul_f32_e32 v56, 0xbeedf032, v39
	v_mul_f32_e32 v63, 0xbf52af12, v39
	;; [unrolled: 1-line block ×4, first 2 shown]
	v_add_f32_e32 v52, v59, v52
	v_mul_f32_e32 v59, 0xbf6f5d39, v53
	v_mul_f32_e32 v70, 0xbf52af12, v41
	;; [unrolled: 1-line block ×3, first 2 shown]
	v_sub_f32_e32 v59, v75, v59
	v_mul_f32_e32 v72, 0xbe750f2a, v41
	v_mul_f32_e32 v41, 0x3f29c268, v41
	v_sub_f32_e32 v39, v62, v39
	v_add_f32_e32 v52, v59, v52
	v_mul_f32_e32 v59, 0xbf7e222b, v44
	v_mul_f32_e32 v62, 0xbe750f2a, v44
	v_sub_f32_e32 v41, v61, v41
	v_mul_f32_e32 v61, 0x3f6f5d39, v44
	v_mul_f32_e32 v44, 0x3eedf032, v44
	v_add_f32_e32 v39, v9, v39
	v_add_f32_e32 v39, v41, v39
	v_sub_f32_e32 v44, v64, v44
	v_mul_f32_e32 v41, 0xbf6f5d39, v48
	v_mul_f32_e32 v64, 0x3f29c268, v48
	v_add_f32_e32 v39, v39, v44
	v_mul_f32_e32 v44, 0x3eedf032, v48
	v_mul_f32_e32 v48, 0xbf7e222b, v48
	v_sub_f32_e32 v48, v65, v48
	v_sub_f32_e32 v4, v4, v56
	v_add_f32_e32 v39, v48, v39
	v_mul_f32_e32 v48, 0x3e750f2a, v51
	v_add_f32_e32 v4, v9, v4
	v_sub_f32_e32 v7, v7, v70
	v_sub_f32_e32 v48, v66, v48
	v_add_f32_e32 v4, v7, v4
	v_sub_f32_e32 v7, v36, v59
	v_mul_f32_e32 v65, 0xbf29c268, v51
	v_add_f32_e32 v39, v48, v39
	v_mul_f32_e32 v48, 0x3f52af12, v53
	v_add_f32_e32 v4, v4, v7
	v_sub_f32_e32 v7, v38, v41
	v_sub_f32_e32 v48, v69, v48
	v_mul_f32_e32 v69, 0xbe750f2a, v53
	v_add_f32_e32 v4, v7, v4
	v_sub_f32_e32 v7, v42, v65
	v_add_f32_e32 v4, v7, v4
	v_sub_f32_e32 v7, v47, v69
	v_add_f32_e32 v4, v7, v4
	v_add_f32_e32 v7, v9, v11
	;; [unrolled: 1-line block ×7, first 2 shown]
	v_sub_f32_e32 v54, v54, v67
	v_sub_f32_e32 v8, v8, v63
	v_add_f32_e32 v7, v7, v23
	v_add_f32_e32 v54, v9, v54
	v_sub_f32_e32 v55, v55, v72
	v_add_f32_e32 v8, v9, v8
	v_sub_f32_e32 v35, v35, v71
	v_add_f32_e32 v7, v7, v25
	v_add_f32_e32 v54, v55, v54
	v_sub_f32_e32 v55, v57, v61
	v_add_f32_e32 v8, v35, v8
	v_sub_f32_e32 v35, v37, v62
	v_add_f32_e32 v7, v7, v27
	v_mul_f32_e32 v66, 0x3f7e222b, v51
	v_mul_f32_e32 v51, 0xbf52af12, v51
	v_add_f32_e32 v54, v54, v55
	v_sub_f32_e32 v44, v58, v44
	v_add_f32_e32 v8, v8, v35
	v_sub_f32_e32 v35, v40, v64
	v_add_f32_e32 v7, v7, v31
	v_add_f32_e32 v39, v48, v39
	v_mul_f32_e32 v48, 0x3eedf032, v53
	v_mul_f32_e32 v53, 0xbf29c268, v53
	v_add_f32_e32 v44, v44, v54
	v_sub_f32_e32 v51, v60, v51
	v_add_f32_e32 v8, v35, v8
	v_sub_f32_e32 v35, v46, v66
	v_add_f32_e32 v7, v29, v7
	v_add_f32_e32 v44, v51, v44
	v_sub_f32_e32 v51, v68, v53
	v_add_f32_e32 v8, v35, v8
	v_sub_f32_e32 v35, v50, v48
	v_add_f32_e32 v7, v33, v7
	v_mad_u32_u24 v9, v43, 52, 0
	v_add_f32_e32 v77, v83, v77
	v_add_f32_e32 v44, v51, v44
	;; [unrolled: 1-line block ×3, first 2 shown]
	ds_write2_b32 v9, v7, v4 offset1:1
	ds_write2_b32 v9, v8, v44 offset0:2 offset1:3
	ds_write2_b32 v9, v39, v52 offset0:4 offset1:5
	;; [unrolled: 1-line block ×5, first 2 shown]
	ds_write_b32 v9, v3 offset:48
.LBB0_13:
	s_or_b64 exec, exec, s[2:3]
	v_lshl_add_u32 v44, v43, 2, 0
	v_add_u32_e32 v4, 0xc00, v44
	s_waitcnt lgkmcnt(0)
	s_barrier
	ds_read2_b32 v[37:38], v4 offset0:51 offset1:233
	v_add_u32_e32 v4, 0x500, v44
	ds_read2_b32 v[41:42], v4 offset0:44 offset1:226
	v_add_u32_e32 v4, 0x1200, v44
	ds_read2_b32 v[39:40], v44 offset1:182
	ds_read2_b32 v[35:36], v4 offset0:31 offset1:213
	s_movk_i32 s2, 0x5b
	v_cmp_gt_u32_e64 s[2:3], s2, v43
	s_and_saveexec_b64 s[4:5], s[2:3]
	s_cbranch_execz .LBB0_15
; %bb.14:
	ds_read_b32 v45, v44 offset:2912
	ds_read_b32 v6, v44 offset:6188
.LBB0_15:
	s_or_b64 exec, exec, s[4:5]
	v_sub_f32_e32 v11, v11, v33
	v_add_f32_e32 v4, v12, v34
	s_mov_b32 s11, 0x3f62ad3f
	v_mul_f32_e32 v48, 0xbeedf032, v11
	v_sub_f32_e32 v29, v13, v29
	v_fma_f32 v7, v4, s11, -v48
	s_mov_b32 s10, 0x3f116cb1
	v_mul_f32_e32 v49, 0xbf52af12, v11
	v_add_f32_e32 v47, v14, v30
	v_mul_f32_e32 v51, 0xbf52af12, v29
	v_add_f32_e32 v7, v10, v7
	v_fma_f32 v8, v4, s10, -v49
	s_mov_b32 s6, 0x3df6dbef
	v_mul_f32_e32 v50, 0xbf7e222b, v11
	s_mov_b32 s7, 0xbeb58ec6
	v_fma_f32 v13, v47, s10, -v51
	v_mul_f32_e32 v53, 0xbf6f5d39, v29
	v_add_f32_e32 v8, v10, v8
	v_fma_f32 v9, v4, s6, -v50
	v_mul_f32_e32 v52, 0xbf6f5d39, v11
	v_add_f32_e32 v7, v13, v7
	v_fma_f32 v13, v47, s7, -v53
	s_mov_b32 s17, 0xbf788fa5
	v_mul_f32_e32 v56, 0xbe750f2a, v29
	v_add_f32_e32 v9, v10, v9
	v_fma_f32 v33, v4, s7, -v52
	s_mov_b32 s16, 0xbf3f9e67
	v_mul_f32_e32 v55, 0xbf29c268, v11
	v_add_f32_e32 v8, v13, v8
	v_fma_f32 v13, v47, s17, -v56
	v_mul_f32_e32 v59, 0x3f29c268, v29
	v_add_f32_e32 v33, v10, v33
	v_fma_f32 v46, v4, s16, -v55
	v_add_f32_e32 v9, v13, v9
	v_fma_f32 v13, v47, s16, -v59
	v_mul_f32_e32 v63, 0x3f7e222b, v29
	v_add_f32_e32 v46, v10, v46
	v_add_f32_e32 v33, v13, v33
	v_fma_f32 v13, v47, s6, -v63
	v_sub_f32_e32 v31, v15, v31
	v_add_f32_e32 v46, v13, v46
	v_add_f32_e32 v13, v16, v32
	v_mul_f32_e32 v54, 0xbf7e222b, v31
	v_fma_f32 v15, v13, s6, -v54
	v_mul_f32_e32 v57, 0xbe750f2a, v31
	v_add_f32_e32 v7, v7, v15
	v_fma_f32 v15, v13, s17, -v57
	v_mul_f32_e32 v60, 0x3f6f5d39, v31
	v_add_f32_e32 v8, v8, v15
	v_fma_f32 v15, v13, s7, -v60
	v_mul_f32_e32 v64, 0x3eedf032, v31
	v_add_f32_e32 v9, v9, v15
	v_fma_f32 v15, v13, s11, -v64
	v_mul_f32_e32 v67, 0xbf52af12, v31
	v_add_f32_e32 v33, v33, v15
	v_fma_f32 v15, v13, s10, -v67
	v_sub_f32_e32 v27, v17, v27
	v_add_f32_e32 v46, v46, v15
	v_add_f32_e32 v15, v18, v28
	v_mul_f32_e32 v58, 0xbf6f5d39, v27
	v_fma_f32 v17, v15, s7, -v58
	v_mul_f32_e32 v61, 0x3f29c268, v27
	v_add_f32_e32 v7, v17, v7
	v_fma_f32 v17, v15, s16, -v61
	v_mul_f32_e32 v65, 0x3eedf032, v27
	v_add_f32_e32 v8, v17, v8
	v_fma_f32 v17, v15, s11, -v65
	v_mul_f32_e32 v68, 0xbf7e222b, v27
	v_add_f32_e32 v9, v17, v9
	v_fma_f32 v17, v15, s6, -v68
	v_mul_f32_e32 v71, 0x3e750f2a, v27
	;; [unrolled: 17-line block ×3, first 2 shown]
	v_sub_f32_e32 v21, v21, v23
	v_add_f32_e32 v33, v9, v33
	v_fma_f32 v9, v17, s11, -v74
	v_add_f32_e32 v19, v22, v24
	v_mul_f32_e32 v23, 0xbe750f2a, v21
	v_add_f32_e32 v77, v9, v46
	v_fma_f32 v9, v19, s17, -v23
	v_mul_f32_e32 v70, 0x3eedf032, v21
	v_add_f32_e32 v9, v9, v7
	v_fma_f32 v7, v19, s11, -v70
	v_mul_f32_e32 v73, 0xbf29c268, v21
	v_add_f32_e32 v8, v7, v8
	v_fma_f32 v7, v19, s16, -v73
	v_add_f32_e32 v7, v7, v75
	v_mul_f32_e32 v75, 0x3f52af12, v21
	v_fma_f32 v46, v19, s10, -v75
	v_mul_f32_e32 v76, 0xbf6f5d39, v21
	v_add_f32_e32 v46, v46, v33
	v_fma_f32 v33, v19, s7, -v76
	v_add_f32_e32 v33, v33, v77
	s_waitcnt lgkmcnt(0)
	s_barrier
	s_and_saveexec_b64 s[4:5], s[0:1]
	s_cbranch_execz .LBB0_17
; %bb.16:
	v_add_f32_e32 v12, v10, v12
	v_add_f32_e32 v12, v12, v14
	;; [unrolled: 1-line block ×6, first 2 shown]
	v_mul_f32_e32 v11, 0xbe750f2a, v11
	v_mul_f32_e32 v77, 0x3f62ad3f, v4
	;; [unrolled: 1-line block ×6, first 2 shown]
	v_add_f32_e32 v12, v12, v24
	v_mov_b32_e32 v24, v11
	v_mul_f32_e32 v82, 0x3f116cb1, v47
	v_mul_f32_e32 v83, 0xbeb58ec6, v47
	v_add_f32_e32 v14, v77, v48
	v_add_f32_e32 v16, v78, v49
	;; [unrolled: 1-line block ×5, first 2 shown]
	v_fmac_f32_e32 v24, 0xbf788fa5, v4
	v_fma_f32 v4, v4, s17, -v11
	v_mul_f32_e32 v84, 0xbf788fa5, v47
	v_mul_f32_e32 v85, 0xbf3f9e67, v47
	v_add_f32_e32 v14, v10, v14
	v_add_f32_e32 v16, v10, v16
	;; [unrolled: 1-line block ×9, first 2 shown]
	v_mul_f32_e32 v86, 0x3df6dbef, v47
	v_add_f32_e32 v10, v10, v14
	v_add_f32_e32 v11, v11, v16
	;; [unrolled: 1-line block ×7, first 2 shown]
	v_mul_f32_e32 v20, 0x3eedf032, v29
	v_mul_f32_e32 v87, 0x3df6dbef, v13
	v_add_f32_e32 v18, v18, v22
	v_mov_b32_e32 v22, v20
	v_fma_f32 v20, v47, s11, -v20
	v_mul_f32_e32 v88, 0xbf788fa5, v13
	v_add_f32_e32 v4, v20, v4
	v_add_f32_e32 v20, v87, v54
	v_mul_f32_e32 v89, 0xbeb58ec6, v13
	v_add_f32_e32 v10, v10, v20
	v_add_f32_e32 v20, v88, v57
	;; [unrolled: 3-line block ×4, first 2 shown]
	v_add_f32_e32 v16, v16, v20
	v_add_f32_e32 v20, v91, v67
	v_fmac_f32_e32 v22, 0x3f62ad3f, v47
	v_add_f32_e32 v18, v18, v20
	v_mul_f32_e32 v20, 0xbf29c268, v31
	v_add_f32_e32 v22, v22, v24
	v_mov_b32_e32 v24, v20
	v_mul_f32_e32 v92, 0xbeb58ec6, v15
	v_fmac_f32_e32 v24, 0xbf3f9e67, v13
	v_fma_f32 v13, v13, s16, -v20
	v_mul_f32_e32 v93, 0xbf3f9e67, v15
	v_add_f32_e32 v4, v4, v13
	v_add_f32_e32 v13, v92, v58
	v_mul_f32_e32 v94, 0x3f62ad3f, v15
	v_add_f32_e32 v10, v13, v10
	v_add_f32_e32 v13, v93, v61
	;; [unrolled: 3-line block ×4, first 2 shown]
	v_add_f32_e32 v14, v14, v16
	v_add_f32_e32 v16, v96, v71
	;; [unrolled: 1-line block ×3, first 2 shown]
	v_mul_f32_e32 v18, 0x3f52af12, v27
	v_mov_b32_e32 v20, v18
	v_mul_f32_e32 v97, 0xbf3f9e67, v17
	v_fmac_f32_e32 v20, 0x3f116cb1, v15
	v_fma_f32 v15, v15, s10, -v18
	v_mul_f32_e32 v98, 0x3df6dbef, v17
	v_add_f32_e32 v4, v15, v4
	v_add_f32_e32 v15, v97, v62
	v_mul_f32_e32 v99, 0x3f116cb1, v17
	v_add_f32_e32 v10, v15, v10
	v_add_f32_e32 v15, v98, v66
	;; [unrolled: 3-line block ×4, first 2 shown]
	v_add_f32_e32 v14, v15, v14
	v_add_f32_e32 v15, v101, v74
	;; [unrolled: 1-line block ×3, first 2 shown]
	v_mul_f32_e32 v16, 0xbf6f5d39, v25
	v_mul_f32_e32 v102, 0xbf788fa5, v19
	v_mov_b32_e32 v18, v16
	v_fma_f32 v16, v17, s7, -v16
	v_mul_f32_e32 v103, 0x3f62ad3f, v19
	v_add_f32_e32 v4, v16, v4
	v_add_f32_e32 v16, v102, v23
	v_mul_f32_e32 v104, 0xbf3f9e67, v19
	v_add_f32_e32 v10, v16, v10
	v_add_f32_e32 v16, v103, v70
	;; [unrolled: 3-line block ×4, first 2 shown]
	v_add_f32_e32 v16, v105, v75
	v_add_f32_e32 v12, v12, v28
	;; [unrolled: 1-line block ×7, first 2 shown]
	v_mul_f32_e32 v16, 0x3f7e222b, v21
	v_add_f32_e32 v12, v30, v12
	v_add_f32_e32 v20, v20, v22
	v_fmac_f32_e32 v18, 0xbeb58ec6, v17
	v_mov_b32_e32 v17, v16
	v_fma_f32 v16, v19, s6, -v16
	v_add_f32_e32 v12, v34, v12
	v_add_f32_e32 v18, v18, v20
	v_fmac_f32_e32 v17, 0x3df6dbef, v19
	v_add_f32_e32 v4, v16, v4
	v_mad_u32_u24 v16, v43, 48, v44
	v_add_f32_e32 v17, v17, v18
	ds_write2_b32 v16, v12, v10 offset1:1
	ds_write2_b32 v16, v11, v13 offset0:2 offset1:3
	ds_write2_b32 v16, v14, v15 offset0:4 offset1:5
	ds_write2_b32 v16, v17, v4 offset0:6 offset1:7
	ds_write2_b32 v16, v33, v46 offset0:8 offset1:9
	ds_write2_b32 v16, v7, v8 offset0:10 offset1:11
	ds_write_b32 v16, v9 offset:48
.LBB0_17:
	s_or_b64 exec, exec, s[4:5]
	v_add_u32_e32 v4, 0xc00, v44
	s_waitcnt lgkmcnt(0)
	s_barrier
	ds_read2_b32 v[16:17], v4 offset0:51 offset1:233
	v_add_u32_e32 v4, 0x500, v44
	ds_read2_b32 v[12:13], v4 offset0:44 offset1:226
	v_add_u32_e32 v4, 0x1200, v44
	ds_read2_b32 v[10:11], v44 offset1:182
	ds_read2_b32 v[14:15], v4 offset0:31 offset1:213
	s_and_saveexec_b64 s[0:1], s[2:3]
	s_cbranch_execz .LBB0_19
; %bb.18:
	ds_read_b32 v33, v44 offset:2912
	ds_read_b32 v46, v44 offset:6188
.LBB0_19:
	s_or_b64 exec, exec, s[0:1]
	s_movk_i32 s0, 0x4f
	v_mul_lo_u16_sdwa v4, v43, s0 dst_sel:DWORD dst_unused:UNUSED_PAD src0_sel:BYTE_0 src1_sel:DWORD
	v_lshrrev_b16_e32 v4, 10, v4
	v_mul_lo_u16_e32 v18, 13, v4
	v_add_u32_e32 v30, 0xb6, v43
	v_sub_u16_e32 v34, v43, v18
	v_mov_b32_e32 v18, 3
	s_movk_i32 s0, 0x4ec5
	v_lshlrev_b32_sdwa v26, v18, v34 dst_sel:DWORD dst_unused:UNUSED_PAD src0_sel:DWORD src1_sel:BYTE_0
	v_mul_u32_u24_sdwa v18, v30, s0 dst_sel:DWORD dst_unused:UNUSED_PAD src0_sel:WORD_0 src1_sel:DWORD
	v_lshrrev_b32_e32 v32, 18, v18
	v_add_u32_e32 v28, 0x16c, v43
	v_mul_lo_u16_e32 v18, 13, v32
	v_sub_u16_e32 v47, v30, v18
	v_mul_u32_u24_sdwa v18, v28, s0 dst_sel:DWORD dst_unused:UNUSED_PAD src0_sel:WORD_0 src1_sel:DWORD
	v_lshrrev_b32_e32 v48, 18, v18
	v_add_u32_e32 v31, 0x222, v43
	v_mul_lo_u16_e32 v18, 13, v48
	v_sub_u16_e32 v49, v28, v18
	v_mul_u32_u24_sdwa v18, v31, s0 dst_sel:DWORD dst_unused:UNUSED_PAD src0_sel:WORD_0 src1_sel:DWORD
	v_lshrrev_b32_e32 v51, 18, v18
	v_mul_lo_u16_e32 v18, 13, v51
	v_add_u32_e32 v29, 0x2d8, v43
	v_sub_u16_e32 v52, v31, v18
	v_lshlrev_b32_e32 v27, 3, v47
	v_lshlrev_b32_e32 v50, 3, v49
	;; [unrolled: 1-line block ×3, first 2 shown]
	global_load_dwordx2 v[24:25], v26, s[8:9]
	global_load_dwordx2 v[22:23], v27, s[8:9]
	;; [unrolled: 1-line block ×4, first 2 shown]
	v_mul_u32_u24_sdwa v26, v29, s0 dst_sel:DWORD dst_unused:UNUSED_PAD src0_sel:WORD_0 src1_sel:DWORD
	v_lshrrev_b32_e32 v50, 18, v26
	v_mul_lo_u16_e32 v26, 13, v50
	v_sub_u16_e32 v53, v29, v26
	v_lshlrev_b32_e32 v26, 3, v53
	global_load_dwordx2 v[26:27], v26, s[8:9]
	v_mov_b32_e32 v54, 2
	v_mul_u32_u24_e32 v4, 0x68, v4
	v_lshlrev_b32_sdwa v34, v54, v34 dst_sel:DWORD dst_unused:UNUSED_PAD src0_sel:DWORD src1_sel:BYTE_0
	v_mul_u32_u24_e32 v55, 0x68, v32
	v_mul_u32_u24_e32 v48, 0x68, v48
	;; [unrolled: 1-line block ×3, first 2 shown]
	v_mul_lo_u16_e32 v32, 26, v50
	v_lshlrev_b32_e32 v49, 2, v49
	v_lshlrev_b32_e32 v50, 2, v52
	v_add3_u32 v34, 0, v4, v34
	v_lshlrev_b32_e32 v47, 2, v47
	v_add3_u32 v48, 0, v48, v49
	v_add3_u32 v49, 0, v51, v50
	;; [unrolled: 1-line block ×3, first 2 shown]
	s_waitcnt vmcnt(0) lgkmcnt(0)
	s_barrier
	v_mul_f32_e32 v4, v16, v25
	v_mul_f32_e32 v50, v17, v23
	;; [unrolled: 1-line block ×4, first 2 shown]
	v_fma_f32 v4, v37, v24, -v4
	v_fma_f32 v50, v38, v22, -v50
	;; [unrolled: 1-line block ×4, first 2 shown]
	v_sub_f32_e32 v55, v39, v4
	v_mul_f32_e32 v54, v46, v27
	v_fma_f32 v54, v6, v26, -v54
	v_sub_f32_e32 v50, v40, v50
	v_sub_f32_e32 v51, v41, v51
	;; [unrolled: 1-line block ×3, first 2 shown]
	v_fma_f32 v39, v39, 2.0, -v55
	v_sub_f32_e32 v4, v45, v54
	v_fma_f32 v40, v40, 2.0, -v50
	v_fma_f32 v41, v41, 2.0, -v51
	;; [unrolled: 1-line block ×3, first 2 shown]
	ds_write2_b32 v34, v39, v55 offset1:13
	ds_write2_b32 v47, v40, v50 offset1:13
	;; [unrolled: 1-line block ×4, first 2 shown]
	v_lshlrev_b32_e32 v39, 2, v53
	s_and_saveexec_b64 s[0:1], s[2:3]
	s_cbranch_execz .LBB0_21
; %bb.20:
	v_lshlrev_b32_e32 v41, 2, v32
	v_fma_f32 v40, v45, 2.0, -v4
	v_add3_u32 v41, 0, v39, v41
	ds_write2_b32 v41, v40, v4 offset1:13
.LBB0_21:
	s_or_b64 exec, exec, s[0:1]
	v_mul_f32_e32 v25, v37, v25
	v_fmac_f32_e32 v25, v16, v24
	v_mul_f32_e32 v16, v38, v23
	v_fmac_f32_e32 v16, v17, v22
	;; [unrolled: 2-line block ×3, first 2 shown]
	v_mul_f32_e32 v14, v36, v19
	v_mul_f32_e32 v6, v6, v27
	v_sub_f32_e32 v27, v12, v17
	v_fmac_f32_e32 v14, v15, v18
	v_sub_f32_e32 v22, v10, v25
	v_sub_f32_e32 v25, v11, v16
	v_fma_f32 v35, v12, 2.0, -v27
	v_add_u32_e32 v12, 0x500, v44
	v_add_u32_e32 v21, 0x1000, v44
	;; [unrolled: 1-line block ×3, first 2 shown]
	v_fmac_f32_e32 v6, v46, v26
	v_fma_f32 v23, v10, 2.0, -v22
	v_fma_f32 v26, v11, 2.0, -v25
	v_sub_f32_e32 v36, v13, v14
	s_waitcnt lgkmcnt(0)
	s_barrier
	ds_read2_b32 v[14:15], v44 offset1:182
	ds_read2_b32 v[10:11], v12 offset0:44 offset1:226
	ds_read2_b32 v[18:19], v21 offset0:68 offset1:250
	;; [unrolled: 1-line block ×3, first 2 shown]
	ds_read_b32 v20, v44 offset:5824
	v_sub_f32_e32 v6, v33, v6
	v_fma_f32 v13, v13, 2.0, -v36
	s_waitcnt lgkmcnt(0)
	s_barrier
	ds_write2_b32 v34, v23, v22 offset1:13
	ds_write2_b32 v47, v26, v25 offset1:13
	ds_write2_b32 v48, v35, v27 offset1:13
	ds_write2_b32 v49, v13, v36 offset1:13
	s_and_saveexec_b64 s[0:1], s[2:3]
	s_cbranch_execz .LBB0_23
; %bb.22:
	v_lshlrev_b32_e32 v22, 2, v32
	v_fma_f32 v13, v33, 2.0, -v6
	v_add3_u32 v22, 0, v39, v22
	ds_write2_b32 v22, v13, v6 offset1:13
.LBB0_23:
	s_or_b64 exec, exec, s[0:1]
	s_movk_i32 s0, 0x4f
	v_mul_lo_u16_sdwa v13, v43, s0 dst_sel:DWORD dst_unused:UNUSED_PAD src0_sel:BYTE_0 src1_sel:DWORD
	s_movk_i32 s0, 0x4ec5
	v_lshrrev_b16_e32 v25, 11, v13
	v_mul_u32_u24_sdwa v22, v30, s0 dst_sel:DWORD dst_unused:UNUSED_PAD src0_sel:WORD_0 src1_sel:DWORD
	v_mul_lo_u16_e32 v13, 26, v25
	v_lshrrev_b32_e32 v33, 19, v22
	v_sub_u16_e32 v32, v43, v13
	v_mov_b32_e32 v13, 4
	v_mul_lo_u16_e32 v22, 26, v33
	v_lshlrev_b32_sdwa v13, v13, v32 dst_sel:DWORD dst_unused:UNUSED_PAD src0_sel:DWORD src1_sel:BYTE_0
	v_sub_u16_e32 v34, v30, v22
	s_waitcnt lgkmcnt(0)
	s_barrier
	global_load_dwordx4 v[45:48], v13, s[8:9] offset:104
	v_lshlrev_b32_e32 v13, 4, v34
	global_load_dwordx4 v[49:52], v13, s[8:9] offset:104
	v_mul_u32_u24_sdwa v13, v28, s0 dst_sel:DWORD dst_unused:UNUSED_PAD src0_sel:WORD_0 src1_sel:DWORD
	v_lshrrev_b32_e32 v35, 19, v13
	v_mul_lo_u16_e32 v13, 26, v35
	v_sub_u16_e32 v36, v28, v13
	v_lshlrev_b32_e32 v13, 4, v36
	global_load_dwordx4 v[53:56], v13, s[8:9] offset:104
	ds_read2_b32 v[22:23], v44 offset1:182
	ds_read2_b32 v[12:13], v12 offset0:44 offset1:226
	ds_read2_b32 v[26:27], v21 offset0:68 offset1:250
	;; [unrolled: 1-line block ×3, first 2 shown]
	ds_read_b32 v21, v44 offset:5824
	v_mov_b32_e32 v24, 2
	v_lshlrev_b32_sdwa v24, v24, v32 dst_sel:DWORD dst_unused:UNUSED_PAD src0_sel:DWORD src1_sel:BYTE_0
	v_lshlrev_b32_e32 v32, 2, v34
	v_lshlrev_b32_e32 v60, 2, v36
	v_mul_u32_u24_e32 v25, 0x138, v25
	v_mul_u32_u24_e32 v33, 0x138, v33
	;; [unrolled: 1-line block ×3, first 2 shown]
	v_add3_u32 v25, 0, v25, v24
	v_add3_u32 v24, 0, v33, v32
	s_waitcnt vmcnt(0) lgkmcnt(0)
	s_barrier
	v_cmp_gt_u32_e64 s[0:1], 52, v43
	v_mul_f32_e32 v36, v13, v46
	v_mul_f32_e32 v37, v11, v46
	v_mul_f32_e32 v39, v26, v48
	v_mul_f32_e32 v38, v18, v48
	v_mul_f32_e32 v40, v57, v50
	v_mul_f32_e32 v34, v16, v50
	v_mul_f32_e32 v46, v27, v52
	v_mul_f32_e32 v35, v19, v52
	v_mul_f32_e32 v48, v58, v54
	v_mul_f32_e32 v50, v21, v56
	v_fma_f32 v41, v11, v45, -v36
	v_fma_f32 v42, v18, v47, -v39
	;; [unrolled: 1-line block ×6, first 2 shown]
	v_mul_f32_e32 v32, v17, v54
	v_mul_f32_e32 v33, v20, v56
	v_fmac_f32_e32 v37, v13, v45
	v_fmac_f32_e32 v38, v26, v47
	;; [unrolled: 1-line block ×4, first 2 shown]
	v_add_f32_e32 v16, v41, v42
	v_add_f32_e32 v19, v39, v40
	v_add_f32_e32 v26, v11, v36
	v_fmac_f32_e32 v32, v58, v53
	v_fmac_f32_e32 v33, v21, v55
	v_add_f32_e32 v13, v14, v41
	v_sub_f32_e32 v17, v37, v38
	v_add_f32_e32 v18, v15, v39
	v_sub_f32_e32 v20, v34, v35
	v_add_f32_e32 v21, v10, v11
	v_fma_f32 v14, -0.5, v16, v14
	v_fmac_f32_e32 v15, -0.5, v19
	v_fmac_f32_e32 v10, -0.5, v26
	v_sub_f32_e32 v27, v32, v33
	v_add_f32_e32 v45, v13, v42
	v_add_f32_e32 v16, v18, v40
	;; [unrolled: 1-line block ×3, first 2 shown]
	v_mov_b32_e32 v19, v14
	v_fmac_f32_e32 v14, 0xbf5db3d7, v17
	v_mov_b32_e32 v21, v15
	v_fmac_f32_e32 v15, 0xbf5db3d7, v20
	;; [unrolled: 2-line block ×3, first 2 shown]
	v_fmac_f32_e32 v21, 0x3f5db3d7, v20
	v_fmac_f32_e32 v13, 0x3f5db3d7, v27
	ds_write_b32 v25, v14 offset:208
	ds_write2_b32 v25, v45, v19 offset1:26
	ds_write2_b32 v24, v16, v21 offset1:26
	ds_write_b32 v24, v15 offset:208
	v_add3_u32 v15, 0, v59, v60
	v_add_u32_e32 v45, 0x700, v44
	v_add_u32_e32 v46, 0xe80, v44
	v_fmac_f32_e32 v10, 0xbf5db3d7, v27
	ds_write2_b32 v15, v18, v13 offset1:26
	ds_write_b32 v15, v10 offset:208
	s_waitcnt lgkmcnt(0)
	s_barrier
	ds_read2_b32 v[16:17], v44 offset1:234
	ds_read2_b32 v[20:21], v45 offset0:20 offset1:254
	ds_read2_b32 v[18:19], v46 offset0:8 offset1:242
	ds_read_b32 v26, v44 offset:5616
                                        ; implicit-def: $vgpr27
	s_and_saveexec_b64 s[2:3], s[0:1]
	s_cbranch_execz .LBB0_25
; %bb.24:
	v_add_u32_e32 v2, 0x2c0, v44
	ds_read2_b32 v[13:14], v2 offset0:6 offset1:240
	v_add_u32_e32 v2, 0xa00, v44
	ds_read2_b32 v[4:5], v2 offset0:10 offset1:244
	;; [unrolled: 2-line block ×3, first 2 shown]
	ds_read_b32 v27, v44 offset:6344
	s_waitcnt lgkmcnt(3)
	v_mov_b32_e32 v10, v14
.LBB0_25:
	s_or_b64 exec, exec, s[2:3]
	v_add_f32_e32 v14, v22, v37
	v_add_f32_e32 v37, v37, v38
	v_fma_f32 v22, -0.5, v37, v22
	v_add_f32_e32 v14, v14, v38
	v_sub_f32_e32 v37, v41, v42
	v_mov_b32_e32 v38, v22
	v_fmac_f32_e32 v38, 0xbf5db3d7, v37
	v_fmac_f32_e32 v22, 0x3f5db3d7, v37
	v_add_f32_e32 v37, v23, v34
	v_add_f32_e32 v34, v34, v35
	v_fmac_f32_e32 v23, -0.5, v34
	v_add_f32_e32 v37, v37, v35
	v_sub_f32_e32 v34, v39, v40
	v_mov_b32_e32 v35, v23
	v_fmac_f32_e32 v35, 0xbf5db3d7, v34
	v_fmac_f32_e32 v23, 0x3f5db3d7, v34
	v_add_f32_e32 v34, v12, v32
	v_add_f32_e32 v32, v32, v33
	v_fmac_f32_e32 v12, -0.5, v32
	v_sub_f32_e32 v32, v11, v36
	v_mov_b32_e32 v11, v12
	v_add_f32_e32 v34, v34, v33
	v_fmac_f32_e32 v11, 0xbf5db3d7, v32
	v_fmac_f32_e32 v12, 0x3f5db3d7, v32
	s_waitcnt lgkmcnt(0)
	s_barrier
	ds_write2_b32 v25, v14, v38 offset1:26
	ds_write_b32 v25, v22 offset:208
	ds_write2_b32 v24, v37, v35 offset1:26
	ds_write_b32 v24, v23 offset:208
	;; [unrolled: 2-line block ×3, first 2 shown]
	s_waitcnt lgkmcnt(0)
	s_barrier
	ds_read2_b32 v[14:15], v44 offset1:234
	ds_read2_b32 v[24:25], v45 offset0:20 offset1:254
	ds_read2_b32 v[22:23], v46 offset0:8 offset1:242
	ds_read_b32 v41, v44 offset:5616
                                        ; implicit-def: $vgpr42
	s_and_saveexec_b64 s[2:3], s[0:1]
	s_cbranch_execz .LBB0_27
; %bb.26:
	v_add_u32_e32 v6, 0x2c0, v44
	ds_read2_b32 v[11:12], v6 offset0:6 offset1:240
	v_add_u32_e32 v6, 0xa00, v44
	v_add_u32_e32 v8, 0x1140, v44
	ds_read2_b32 v[6:7], v6 offset0:10 offset1:244
	ds_read2_b32 v[8:9], v8 offset0:14 offset1:248
	ds_read_b32 v42, v44 offset:6344
.LBB0_27:
	s_or_b64 exec, exec, s[2:3]
	v_lshrrev_b16_e32 v32, 1, v43
	v_lshrrev_b16_e32 v33, 1, v30
	v_and_b32_e32 v32, 0x7f, v32
	v_mul_u32_u24_e32 v33, 0x6907, v33
	v_lshrrev_b32_e32 v33, 20, v33
	v_mul_lo_u16_e32 v32, 0xd3, v32
	v_mul_lo_u16_e32 v33, 0x4e, v33
	v_lshrrev_b16_e32 v76, 13, v32
	v_sub_u16_e32 v75, v30, v33
	v_mul_lo_u16_e32 v32, 0x4e, v76
	v_mul_u32_u24_e32 v33, 6, v75
	v_sub_u16_e32 v77, v43, v32
	v_mov_b32_e32 v32, 6
	v_lshlrev_b32_e32 v33, 3, v33
	v_mul_u32_u24_sdwa v32, v77, v32 dst_sel:DWORD dst_unused:UNUSED_PAD src0_sel:BYTE_0 src1_sel:DWORD
	global_load_dwordx4 v[51:54], v33, s[8:9] offset:552
	global_load_dwordx4 v[55:58], v33, s[8:9] offset:536
	v_lshlrev_b32_e32 v32, 3, v32
	global_load_dwordx4 v[59:62], v32, s[8:9] offset:520
	global_load_dwordx4 v[63:66], v32, s[8:9] offset:536
	;; [unrolled: 1-line block ×4, first 2 shown]
	s_mov_b32 s4, 0x3f5ff5aa
	s_mov_b32 s5, 0x3f3bfb3b
	;; [unrolled: 1-line block ×4, first 2 shown]
	s_waitcnt vmcnt(0) lgkmcnt(0)
	s_barrier
	v_mul_f32_e32 v46, v20, v62
	v_mul_f32_e32 v36, v7, v56
	;; [unrolled: 1-line block ×22, first 2 shown]
	v_fma_f32 v39, v2, v57, -v39
	v_fmac_f32_e32 v33, v8, v57
	v_fma_f32 v40, v3, v51, -v40
	v_fmac_f32_e32 v34, v9, v51
	v_fma_f32 v2, v17, v59, -v54
	v_fma_f32 v3, v20, v61, -v56
	;; [unrolled: 1-line block ×4, first 2 shown]
	v_mul_f32_e32 v50, v26, v70
	v_mul_f32_e32 v38, v4, v74
	v_fma_f32 v36, v5, v55, -v36
	v_fmac_f32_e32 v32, v7, v55
	v_fmac_f32_e32 v45, v15, v59
	v_fma_f32 v5, v21, v63, -v58
	v_fma_f32 v7, v18, v65, -v60
	;; [unrolled: 1-line block ×3, first 2 shown]
	v_fmac_f32_e32 v37, v12, v71
	v_fma_f32 v12, v4, v73, -v68
	v_add_f32_e32 v4, v2, v9
	v_add_f32_e32 v10, v3, v8
	v_fmac_f32_e32 v46, v24, v61
	v_fmac_f32_e32 v47, v25, v63
	;; [unrolled: 1-line block ×5, first 2 shown]
	v_add_f32_e32 v18, v5, v7
	v_add_f32_e32 v20, v10, v4
	v_fmac_f32_e32 v38, v6, v73
	v_sub_f32_e32 v6, v45, v50
	v_sub_f32_e32 v17, v46, v49
	;; [unrolled: 1-line block ×6, first 2 shown]
	v_add_f32_e32 v18, v18, v20
	v_add_f32_e32 v22, v19, v17
	v_sub_f32_e32 v23, v19, v17
	v_sub_f32_e32 v17, v17, v6
	v_add_f32_e32 v16, v16, v18
	v_sub_f32_e32 v19, v6, v19
	v_add_f32_e32 v6, v22, v6
	v_mul_f32_e32 v4, 0x3f4a47b2, v4
	v_mul_f32_e32 v20, 0x3d64c772, v10
	;; [unrolled: 1-line block ×4, first 2 shown]
	v_mov_b32_e32 v24, v16
	v_fma_f32 v20, v21, s5, -v20
	v_fmac_f32_e32 v24, 0xbf955555, v18
	v_fma_f32 v18, v21, s6, -v4
	v_fmac_f32_e32 v4, 0x3d64c772, v10
	v_fma_f32 v10, v17, s4, -v22
	v_fma_f32 v17, v19, s7, -v23
	v_fmac_f32_e32 v22, 0x3eae86e6, v19
	v_add_f32_e32 v19, v20, v24
	v_add_f32_e32 v18, v18, v24
	v_fmac_f32_e32 v10, 0x3ee1c552, v6
	v_fmac_f32_e32 v17, 0x3ee1c552, v6
	v_add_f32_e32 v20, v17, v18
	v_sub_f32_e32 v21, v19, v10
	v_add_f32_e32 v10, v10, v19
	v_sub_f32_e32 v19, v18, v17
	v_mov_b32_e32 v18, 2
	v_add_f32_e32 v4, v4, v24
	v_fmac_f32_e32 v22, 0x3ee1c552, v6
	v_mul_u32_u24_e32 v17, 0x888, v76
	v_lshlrev_b32_sdwa v18, v18, v77 dst_sel:DWORD dst_unused:UNUSED_PAD src0_sel:DWORD src1_sel:BYTE_0
	v_add_f32_e32 v6, v22, v4
	v_add3_u32 v17, 0, v17, v18
	v_fma_f32 v27, v27, v53, -v52
	v_fmac_f32_e32 v35, v42, v53
	ds_write2_b32 v17, v16, v6 offset1:78
	ds_write2_b32 v17, v20, v21 offset0:156 offset1:234
	v_add_u32_e32 v18, 0x400, v17
	v_lshl_add_u32 v16, v75, 2, 0
	v_sub_f32_e32 v4, v4, v22
	ds_write2_b32 v18, v10, v19 offset0:56 offset1:134
	ds_write_b32 v17, v4 offset:1872
	s_and_saveexec_b64 s[2:3], s[0:1]
	s_cbranch_execz .LBB0_29
; %bb.28:
	v_add_f32_e32 v4, v15, v27
	v_add_f32_e32 v6, v36, v39
	v_sub_f32_e32 v10, v4, v6
	v_mul_f32_e32 v10, 0x3f4a47b2, v10
	v_add_f32_e32 v19, v12, v40
	v_sub_f32_e32 v20, v6, v19
	v_mov_b32_e32 v22, v10
	v_mul_f32_e32 v21, 0x3d64c772, v20
	v_fmac_f32_e32 v22, 0x3d64c772, v20
	v_add_f32_e32 v20, v19, v4
	v_add_f32_e32 v6, v6, v20
	;; [unrolled: 1-line block ×3, first 2 shown]
	v_mov_b32_e32 v20, v13
	v_sub_f32_e32 v23, v33, v32
	v_sub_f32_e32 v25, v38, v34
	v_fmac_f32_e32 v20, 0xbf955555, v6
	v_sub_f32_e32 v26, v23, v25
	v_add_f32_e32 v6, v22, v20
	v_sub_f32_e32 v22, v37, v35
	v_mul_f32_e32 v26, 0xbf08b237, v26
	v_sub_f32_e32 v24, v22, v23
	v_mov_b32_e32 v41, v26
	v_add_f32_e32 v23, v23, v25
	v_sub_f32_e32 v4, v19, v4
	v_sub_f32_e32 v19, v25, v22
	v_fmac_f32_e32 v41, 0x3eae86e6, v24
	v_add_f32_e32 v23, v23, v22
	v_fma_f32 v10, v4, s6, -v10
	v_mul_f32_e32 v22, 0x3f5ff5aa, v19
	v_fma_f32 v19, v19, s4, -v26
	v_fma_f32 v4, v4, s5, -v21
	v_fmac_f32_e32 v41, 0x3ee1c552, v23
	v_fma_f32 v22, v24, s7, -v22
	v_fmac_f32_e32 v19, 0x3ee1c552, v23
	v_add_f32_e32 v4, v4, v20
	v_sub_f32_e32 v42, v6, v41
	v_add_f32_e32 v10, v10, v20
	v_fmac_f32_e32 v22, 0x3ee1c552, v23
	v_add_f32_e32 v20, v19, v4
	v_sub_f32_e32 v4, v4, v19
	v_add_f32_e32 v6, v41, v6
	v_add_u32_e32 v19, 0x1000, v16
	v_sub_f32_e32 v24, v10, v22
	v_add_f32_e32 v10, v22, v10
	ds_write2_b32 v19, v13, v6 offset0:68 offset1:146
	v_add_u32_e32 v6, 0x1200, v16
	ds_write2_b32 v6, v10, v4 offset0:96 offset1:174
	v_add_u32_e32 v4, 0x1400, v16
	ds_write2_b32 v4, v20, v24 offset0:124 offset1:202
	ds_write_b32 v16, v42 offset:6240
.LBB0_29:
	s_or_b64 exec, exec, s[2:3]
	v_add_f32_e32 v4, v45, v50
	v_add_f32_e32 v6, v46, v49
	v_sub_f32_e32 v3, v3, v8
	v_add_f32_e32 v8, v47, v48
	v_sub_f32_e32 v5, v7, v5
	v_add_f32_e32 v7, v6, v4
	v_add_f32_e32 v7, v8, v7
	v_sub_f32_e32 v2, v2, v9
	v_sub_f32_e32 v9, v6, v4
	;; [unrolled: 1-line block ×4, first 2 shown]
	v_add_f32_e32 v10, v5, v3
	v_sub_f32_e32 v13, v5, v3
	v_add_f32_e32 v14, v14, v7
	v_sub_f32_e32 v5, v2, v5
	v_sub_f32_e32 v3, v3, v2
	v_add_f32_e32 v2, v10, v2
	v_mul_f32_e32 v4, 0x3f4a47b2, v4
	v_mul_f32_e32 v8, 0x3d64c772, v6
	;; [unrolled: 1-line block ×3, first 2 shown]
	v_mov_b32_e32 v19, v14
	v_mul_f32_e32 v13, 0x3f5ff5aa, v3
	v_fmac_f32_e32 v19, 0xbf955555, v7
	v_fma_f32 v7, v9, s5, -v8
	v_fma_f32 v8, v9, s6, -v4
	v_fmac_f32_e32 v4, 0x3d64c772, v6
	v_fma_f32 v3, v3, s4, -v10
	v_fmac_f32_e32 v10, 0x3eae86e6, v5
	v_fma_f32 v5, v5, s7, -v13
	v_add_f32_e32 v4, v4, v19
	v_fmac_f32_e32 v10, 0x3ee1c552, v2
	v_add_f32_e32 v6, v7, v19
	v_add_f32_e32 v7, v8, v19
	v_fmac_f32_e32 v3, 0x3ee1c552, v2
	v_fmac_f32_e32 v5, 0x3ee1c552, v2
	v_sub_f32_e32 v13, v4, v10
	v_add_f32_e32 v23, v10, v4
	v_add_u32_e32 v4, 0x500, v44
	v_sub_f32_e32 v19, v7, v5
	v_add_f32_e32 v20, v3, v6
	v_sub_f32_e32 v21, v6, v3
	v_add_f32_e32 v22, v5, v7
	s_waitcnt lgkmcnt(0)
	s_barrier
	ds_read2_b32 v[6:7], v4 offset0:44 offset1:226
	v_add_u32_e32 v4, 0x1000, v44
	v_add_u32_e32 v8, 0xb00, v44
	ds_read2_b32 v[2:3], v44 offset1:182
	ds_read2_b32 v[4:5], v4 offset0:68 offset1:250
	ds_read2_b32 v[8:9], v8 offset0:24 offset1:206
	ds_read_b32 v10, v44 offset:5824
	s_waitcnt lgkmcnt(0)
	s_barrier
	ds_write2_b32 v17, v14, v13 offset1:78
	ds_write2_b32 v17, v19, v20 offset0:156 offset1:234
	ds_write2_b32 v18, v21, v22 offset0:56 offset1:134
	ds_write_b32 v17, v23 offset:1872
	s_and_saveexec_b64 s[2:3], s[0:1]
	s_cbranch_execz .LBB0_31
; %bb.30:
	v_add_f32_e32 v13, v37, v35
	v_sub_f32_e32 v14, v15, v27
	v_add_f32_e32 v15, v38, v34
	v_add_f32_e32 v17, v32, v33
	;; [unrolled: 1-line block ×3, first 2 shown]
	v_sub_f32_e32 v20, v15, v13
	v_sub_f32_e32 v13, v13, v17
	;; [unrolled: 1-line block ×3, first 2 shown]
	v_add_f32_e32 v17, v17, v19
	v_sub_f32_e32 v12, v12, v40
	v_sub_f32_e32 v18, v39, v36
	v_add_f32_e32 v11, v11, v17
	v_add_f32_e32 v21, v18, v12
	v_sub_f32_e32 v22, v18, v12
	v_mul_f32_e32 v19, 0x3d64c772, v15
	v_mov_b32_e32 v23, v11
	s_mov_b32 s1, 0x3f3bfb3b
	v_sub_f32_e32 v18, v14, v18
	v_sub_f32_e32 v12, v12, v14
	v_add_f32_e32 v14, v21, v14
	v_mul_f32_e32 v13, 0x3f4a47b2, v13
	v_mul_f32_e32 v21, 0xbf08b237, v22
	s_mov_b32 s0, 0x3f5ff5aa
	v_fmac_f32_e32 v23, 0xbf955555, v17
	v_fma_f32 v17, v20, s1, -v19
	s_mov_b32 s1, 0xbf3bfb3b
	v_mul_f32_e32 v22, 0x3f5ff5aa, v12
	v_fma_f32 v19, v20, s1, -v13
	v_fmac_f32_e32 v13, 0x3d64c772, v15
	v_fma_f32 v12, v12, s0, -v21
	v_fmac_f32_e32 v21, 0x3eae86e6, v18
	s_mov_b32 s0, 0xbeae86e6
	v_fma_f32 v15, v18, s0, -v22
	v_add_f32_e32 v13, v13, v23
	v_add_f32_e32 v17, v17, v23
	v_fmac_f32_e32 v21, 0x3ee1c552, v14
	v_fmac_f32_e32 v12, 0x3ee1c552, v14
	v_add_f32_e32 v18, v19, v23
	v_fmac_f32_e32 v15, 0x3ee1c552, v14
	v_sub_f32_e32 v14, v13, v21
	v_add_f32_e32 v20, v12, v17
	v_sub_f32_e32 v12, v17, v12
	v_add_u32_e32 v17, 0x1000, v16
	v_sub_f32_e32 v19, v18, v15
	ds_write2_b32 v17, v11, v14 offset0:68 offset1:146
	v_add_u32_e32 v11, 0x1200, v16
	v_add_f32_e32 v15, v15, v18
	ds_write2_b32 v11, v19, v20 offset0:96 offset1:174
	v_add_u32_e32 v11, 0x1400, v16
	v_add_f32_e32 v13, v21, v13
	ds_write2_b32 v11, v12, v15 offset0:124 offset1:202
	ds_write_b32 v16, v13 offset:6240
.LBB0_31:
	s_or_b64 exec, exec, s[2:3]
	s_waitcnt lgkmcnt(0)
	s_barrier
	s_and_saveexec_b64 s[0:1], vcc
	s_cbranch_execz .LBB0_33
; %bb.32:
	v_lshlrev_b32_e32 v19, 1, v28
	v_mov_b32_e32 v20, 0
	v_lshlrev_b64 v[11:12], 3, v[19:20]
	v_mov_b32_e32 v21, s9
	v_add_co_u32_e32 v11, vcc, s8, v11
	v_addc_co_u32_e32 v12, vcc, v21, v12, vcc
	v_lshlrev_b32_e32 v19, 1, v30
	v_add_co_u32_e32 v11, vcc, 0x1000, v11
	v_lshlrev_b64 v[15:16], 3, v[19:20]
	v_addc_co_u32_e32 v12, vcc, 0, v12, vcc
	v_add_co_u32_e32 v15, vcc, s8, v15
	s_movk_i32 s0, 0x1000
	v_addc_co_u32_e32 v16, vcc, v21, v16, vcc
	v_lshlrev_b32_e32 v19, 1, v43
	v_add_co_u32_e32 v15, vcc, s0, v15
	v_lshlrev_b64 v[19:20], 3, v[19:20]
	v_addc_co_u32_e32 v16, vcc, 0, v16, vcc
	global_load_dwordx4 v[11:14], v[11:12], off offset:168
	v_add_co_u32_e32 v19, vcc, s8, v19
	global_load_dwordx4 v[15:18], v[15:16], off offset:168
	v_addc_co_u32_e32 v20, vcc, v21, v20, vcc
	v_add_co_u32_e32 v19, vcc, s0, v19
	v_addc_co_u32_e32 v20, vcc, 0, v20, vcc
	global_load_dwordx4 v[19:22], v[19:20], off offset:168
	v_add_u32_e32 v23, 0xb00, v44
	ds_read_b32 v27, v44 offset:5824
	v_add_u32_e32 v32, 0x500, v44
	ds_read2_b32 v[23:24], v23 offset0:24 offset1:206
	v_add_u32_e32 v34, 0x1000, v44
	ds_read2_b32 v[25:26], v44 offset1:182
	ds_read2_b32 v[32:33], v32 offset0:44 offset1:226
	ds_read2_b32 v[34:35], v34 offset0:68 offset1:250
	s_movk_i32 s2, 0x444
	s_waitcnt vmcnt(2) lgkmcnt(3)
	v_mul_f32_e32 v36, v24, v12
	v_mul_f32_e32 v37, v27, v14
	;; [unrolled: 1-line block ×4, first 2 shown]
	s_waitcnt vmcnt(1)
	v_mul_f32_e32 v38, v23, v16
	s_waitcnt lgkmcnt(0)
	v_mul_f32_e32 v39, v35, v18
	v_fma_f32 v9, v9, v11, -v36
	v_fma_f32 v10, v10, v13, -v37
	v_mul_f32_e32 v16, v8, v16
	v_mul_f32_e32 v18, v5, v18
	v_fmac_f32_e32 v12, v11, v24
	v_fmac_f32_e32 v14, v13, v27
	v_fma_f32 v8, v8, v15, -v38
	v_fma_f32 v24, v5, v17, -v39
	v_add_f32_e32 v11, v9, v10
	v_fmac_f32_e32 v18, v17, v35
	v_add_f32_e32 v5, v12, v14
	v_sub_f32_e32 v27, v12, v14
	v_add_f32_e32 v12, v12, v32
	v_add_f32_e32 v13, v6, v9
	v_sub_f32_e32 v35, v8, v24
	v_add_f32_e32 v17, v8, v24
	v_add_f32_e32 v37, v3, v8
	v_fma_f32 v8, -0.5, v11, v6
	v_fmac_f32_e32 v16, v15, v23
	v_sub_f32_e32 v23, v9, v10
	v_fma_f32 v9, -0.5, v5, v32
	v_add_f32_e32 v6, v14, v12
	v_add_f32_e32 v5, v13, v10
	v_fma_f32 v10, -0.5, v17, v3
	v_mov_b32_e32 v14, v8
	s_waitcnt vmcnt(0)
	v_mul_f32_e32 v3, v33, v20
	v_add_f32_e32 v15, v16, v18
	v_fmac_f32_e32 v8, 0x3f5db3d7, v27
	v_fmac_f32_e32 v14, 0xbf5db3d7, v27
	v_add_f32_e32 v12, v37, v24
	v_fma_f32 v24, v7, v19, -v3
	v_mul_f32_e32 v3, v34, v22
	v_mul_f32_e32 v7, v7, v20
	;; [unrolled: 1-line block ×3, first 2 shown]
	v_sub_f32_e32 v36, v16, v18
	v_add_f32_e32 v16, v16, v26
	v_fma_f32 v11, -0.5, v15, v26
	v_fma_f32 v26, v4, v21, -v3
	v_fmac_f32_e32 v7, v19, v33
	v_fmac_f32_e32 v27, v21, v34
	v_mad_u64_u32 v[20:21], s[0:1], s12, v43, 0
	v_add_f32_e32 v3, v7, v27
	v_mov_b32_e32 v15, v9
	v_fma_f32 v4, -0.5, v3, v25
	v_add_f32_e32 v3, v24, v26
	v_fmac_f32_e32 v9, 0xbf5db3d7, v23
	v_fmac_f32_e32 v15, 0x3f5db3d7, v23
	v_sub_f32_e32 v23, v24, v26
	v_mov_b32_e32 v19, v4
	v_fma_f32 v3, -0.5, v3, v2
	v_add_f32_e32 v13, v18, v16
	v_fmac_f32_e32 v19, 0x3f5db3d7, v23
	v_sub_f32_e32 v22, v7, v27
	v_mov_b32_e32 v18, v3
	v_fmac_f32_e32 v4, 0xbf5db3d7, v23
	v_add_f32_e32 v23, v7, v25
	v_mov_b32_e32 v7, v21
	v_fmac_f32_e32 v18, 0xbf5db3d7, v22
	v_fmac_f32_e32 v3, 0x3f5db3d7, v22
	v_mad_u64_u32 v[21:22], s[0:1], s13, v43, v[7:8]
	v_add_f32_e32 v2, v2, v24
	v_add_f32_e32 v22, v2, v26
	v_mov_b32_e32 v2, s15
	v_add_co_u32_e32 v7, vcc, s14, v0
	v_add_f32_e32 v23, v27, v23
	v_addc_co_u32_e32 v27, vcc, v2, v1, vcc
	v_lshlrev_b64 v[0:1], 3, v[20:21]
	v_mad_u64_u32 v[20:21], s[0:1], s12, v31, 0
	v_add_co_u32_e32 v0, vcc, v7, v0
	v_mov_b32_e32 v2, v21
	v_mad_u64_u32 v[24:25], s[0:1], s13, v31, v[2:3]
	v_add_u32_e32 v31, 0x444, v43
	v_mad_u64_u32 v[25:26], s[0:1], s12, v31, 0
	v_addc_co_u32_e32 v1, vcc, v27, v1, vcc
	v_mov_b32_e32 v21, v24
	global_store_dwordx2 v[0:1], v[22:23], off
	v_lshlrev_b64 v[0:1], 3, v[20:21]
	v_mov_b32_e32 v2, v26
	v_add_co_u32_e32 v0, vcc, v7, v0
	v_mad_u64_u32 v[20:21], s[0:1], s13, v31, v[2:3]
	v_addc_co_u32_e32 v1, vcc, v27, v1, vcc
	global_store_dwordx2 v[0:1], v[3:4], off
	v_mad_u64_u32 v[2:3], s[0:1], s12, v30, 0
	v_mov_b32_e32 v26, v20
	v_lshlrev_b64 v[0:1], 3, v[25:26]
	v_mad_u64_u32 v[3:4], s[0:1], s13, v30, v[3:4]
	v_mad_u64_u32 v[20:21], s[0:1], s12, v29, 0
	v_add_co_u32_e32 v0, vcc, v7, v0
	v_addc_co_u32_e32 v1, vcc, v27, v1, vcc
	global_store_dwordx2 v[0:1], v[18:19], off
	v_lshlrev_b64 v[0:1], 3, v[2:3]
	v_mov_b32_e32 v2, v21
	v_mad_u64_u32 v[2:3], s[0:1], s13, v29, v[2:3]
	v_add_co_u32_e32 v0, vcc, v7, v0
	v_add_u32_e32 v4, 0x4fa, v43
	v_addc_co_u32_e32 v1, vcc, v27, v1, vcc
	v_mov_b32_e32 v21, v2
	v_mad_u64_u32 v[2:3], s[0:1], s12, v4, 0
	global_store_dwordx2 v[0:1], v[12:13], off
	v_lshrrev_b32_e32 v12, 1, v28
	s_mov_b32 s0, 0xf00f00f1
	v_mul_hi_u32 v12, v12, s0
	v_mad_u64_u32 v[3:4], s[0:1], s13, v4, v[3:4]
	v_lshlrev_b64 v[0:1], 3, v[20:21]
	v_lshrrev_b32_e32 v4, 8, v12
	v_mad_u32_u24 v18, v4, s2, v28
	v_mad_u64_u32 v[12:13], s[0:1], s12, v18, 0
	v_add_co_u32_e32 v0, vcc, v7, v0
	v_mov_b32_e32 v17, v11
	v_mov_b32_e32 v16, v10
	v_fmac_f32_e32 v11, 0xbf5db3d7, v35
	v_fmac_f32_e32 v10, 0x3f5db3d7, v36
	v_addc_co_u32_e32 v1, vcc, v27, v1, vcc
	global_store_dwordx2 v[0:1], v[10:11], off
	v_lshlrev_b64 v[0:1], 3, v[2:3]
	v_mov_b32_e32 v2, v13
	v_mad_u64_u32 v[2:3], s[0:1], s13, v18, v[2:3]
	v_add_u32_e32 v4, 0x222, v18
	v_add_co_u32_e32 v0, vcc, v7, v0
	v_mov_b32_e32 v13, v2
	v_mad_u64_u32 v[2:3], s[0:1], s12, v4, 0
	v_fmac_f32_e32 v17, 0x3f5db3d7, v35
	v_fmac_f32_e32 v16, 0xbf5db3d7, v36
	v_mad_u64_u32 v[3:4], s[0:1], s13, v4, v[3:4]
	v_addc_co_u32_e32 v1, vcc, v27, v1, vcc
	v_add_u32_e32 v4, 0x444, v18
	global_store_dwordx2 v[0:1], v[16:17], off
	v_lshlrev_b64 v[0:1], 3, v[12:13]
	v_mad_u64_u32 v[10:11], s[0:1], s12, v4, 0
	v_add_co_u32_e32 v0, vcc, v7, v0
	v_addc_co_u32_e32 v1, vcc, v27, v1, vcc
	global_store_dwordx2 v[0:1], v[5:6], off
	v_lshlrev_b64 v[0:1], 3, v[2:3]
	v_mov_b32_e32 v2, v11
	v_mad_u64_u32 v[2:3], s[0:1], s13, v4, v[2:3]
	v_add_co_u32_e32 v0, vcc, v7, v0
	v_addc_co_u32_e32 v1, vcc, v27, v1, vcc
	v_mov_b32_e32 v11, v2
	global_store_dwordx2 v[0:1], v[8:9], off
	v_lshlrev_b64 v[0:1], 3, v[10:11]
	v_add_co_u32_e32 v0, vcc, v7, v0
	v_addc_co_u32_e32 v1, vcc, v27, v1, vcc
	global_store_dwordx2 v[0:1], v[14:15], off
.LBB0_33:
	s_endpgm
	.section	.rodata,"a",@progbits
	.p2align	6, 0x0
	.amdhsa_kernel fft_rtc_fwd_len1638_factors_13_2_3_7_3_wgs_182_tpt_182_halfLds_sp_ip_CI_sbrr_dirReg
		.amdhsa_group_segment_fixed_size 0
		.amdhsa_private_segment_fixed_size 0
		.amdhsa_kernarg_size 88
		.amdhsa_user_sgpr_count 6
		.amdhsa_user_sgpr_private_segment_buffer 1
		.amdhsa_user_sgpr_dispatch_ptr 0
		.amdhsa_user_sgpr_queue_ptr 0
		.amdhsa_user_sgpr_kernarg_segment_ptr 1
		.amdhsa_user_sgpr_dispatch_id 0
		.amdhsa_user_sgpr_flat_scratch_init 0
		.amdhsa_user_sgpr_private_segment_size 0
		.amdhsa_uses_dynamic_stack 0
		.amdhsa_system_sgpr_private_segment_wavefront_offset 0
		.amdhsa_system_sgpr_workgroup_id_x 1
		.amdhsa_system_sgpr_workgroup_id_y 0
		.amdhsa_system_sgpr_workgroup_id_z 0
		.amdhsa_system_sgpr_workgroup_info 0
		.amdhsa_system_vgpr_workitem_id 0
		.amdhsa_next_free_vgpr 107
		.amdhsa_next_free_sgpr 24
		.amdhsa_reserve_vcc 1
		.amdhsa_reserve_flat_scratch 0
		.amdhsa_float_round_mode_32 0
		.amdhsa_float_round_mode_16_64 0
		.amdhsa_float_denorm_mode_32 3
		.amdhsa_float_denorm_mode_16_64 3
		.amdhsa_dx10_clamp 1
		.amdhsa_ieee_mode 1
		.amdhsa_fp16_overflow 0
		.amdhsa_exception_fp_ieee_invalid_op 0
		.amdhsa_exception_fp_denorm_src 0
		.amdhsa_exception_fp_ieee_div_zero 0
		.amdhsa_exception_fp_ieee_overflow 0
		.amdhsa_exception_fp_ieee_underflow 0
		.amdhsa_exception_fp_ieee_inexact 0
		.amdhsa_exception_int_div_zero 0
	.end_amdhsa_kernel
	.text
.Lfunc_end0:
	.size	fft_rtc_fwd_len1638_factors_13_2_3_7_3_wgs_182_tpt_182_halfLds_sp_ip_CI_sbrr_dirReg, .Lfunc_end0-fft_rtc_fwd_len1638_factors_13_2_3_7_3_wgs_182_tpt_182_halfLds_sp_ip_CI_sbrr_dirReg
                                        ; -- End function
	.section	.AMDGPU.csdata,"",@progbits
; Kernel info:
; codeLenInByte = 9768
; NumSgprs: 28
; NumVgprs: 107
; ScratchSize: 0
; MemoryBound: 0
; FloatMode: 240
; IeeeMode: 1
; LDSByteSize: 0 bytes/workgroup (compile time only)
; SGPRBlocks: 3
; VGPRBlocks: 26
; NumSGPRsForWavesPerEU: 28
; NumVGPRsForWavesPerEU: 107
; Occupancy: 2
; WaveLimiterHint : 1
; COMPUTE_PGM_RSRC2:SCRATCH_EN: 0
; COMPUTE_PGM_RSRC2:USER_SGPR: 6
; COMPUTE_PGM_RSRC2:TRAP_HANDLER: 0
; COMPUTE_PGM_RSRC2:TGID_X_EN: 1
; COMPUTE_PGM_RSRC2:TGID_Y_EN: 0
; COMPUTE_PGM_RSRC2:TGID_Z_EN: 0
; COMPUTE_PGM_RSRC2:TIDIG_COMP_CNT: 0
	.type	__hip_cuid_d6ad815de197b59,@object ; @__hip_cuid_d6ad815de197b59
	.section	.bss,"aw",@nobits
	.globl	__hip_cuid_d6ad815de197b59
__hip_cuid_d6ad815de197b59:
	.byte	0                               ; 0x0
	.size	__hip_cuid_d6ad815de197b59, 1

	.ident	"AMD clang version 19.0.0git (https://github.com/RadeonOpenCompute/llvm-project roc-6.4.0 25133 c7fe45cf4b819c5991fe208aaa96edf142730f1d)"
	.section	".note.GNU-stack","",@progbits
	.addrsig
	.addrsig_sym __hip_cuid_d6ad815de197b59
	.amdgpu_metadata
---
amdhsa.kernels:
  - .args:
      - .actual_access:  read_only
        .address_space:  global
        .offset:         0
        .size:           8
        .value_kind:     global_buffer
      - .offset:         8
        .size:           8
        .value_kind:     by_value
      - .actual_access:  read_only
        .address_space:  global
        .offset:         16
        .size:           8
        .value_kind:     global_buffer
      - .actual_access:  read_only
        .address_space:  global
        .offset:         24
        .size:           8
        .value_kind:     global_buffer
      - .offset:         32
        .size:           8
        .value_kind:     by_value
      - .actual_access:  read_only
        .address_space:  global
        .offset:         40
        .size:           8
        .value_kind:     global_buffer
      - .actual_access:  read_only
        .address_space:  global
        .offset:         48
        .size:           8
        .value_kind:     global_buffer
      - .offset:         56
        .size:           4
        .value_kind:     by_value
      - .actual_access:  read_only
        .address_space:  global
        .offset:         64
        .size:           8
        .value_kind:     global_buffer
      - .actual_access:  read_only
        .address_space:  global
        .offset:         72
        .size:           8
        .value_kind:     global_buffer
      - .address_space:  global
        .offset:         80
        .size:           8
        .value_kind:     global_buffer
    .group_segment_fixed_size: 0
    .kernarg_segment_align: 8
    .kernarg_segment_size: 88
    .language:       OpenCL C
    .language_version:
      - 2
      - 0
    .max_flat_workgroup_size: 182
    .name:           fft_rtc_fwd_len1638_factors_13_2_3_7_3_wgs_182_tpt_182_halfLds_sp_ip_CI_sbrr_dirReg
    .private_segment_fixed_size: 0
    .sgpr_count:     28
    .sgpr_spill_count: 0
    .symbol:         fft_rtc_fwd_len1638_factors_13_2_3_7_3_wgs_182_tpt_182_halfLds_sp_ip_CI_sbrr_dirReg.kd
    .uniform_work_group_size: 1
    .uses_dynamic_stack: false
    .vgpr_count:     107
    .vgpr_spill_count: 0
    .wavefront_size: 64
amdhsa.target:   amdgcn-amd-amdhsa--gfx906
amdhsa.version:
  - 1
  - 2
...

	.end_amdgpu_metadata
